;; amdgpu-corpus repo=ROCm/rocFFT kind=compiled arch=gfx906 opt=O3
	.text
	.amdgcn_target "amdgcn-amd-amdhsa--gfx906"
	.amdhsa_code_object_version 6
	.protected	fft_rtc_fwd_len42_factors_2_3_7_wgs_63_tpt_7_dim2_sp_ip_CI_unitstride_sbrr_dirReg ; -- Begin function fft_rtc_fwd_len42_factors_2_3_7_wgs_63_tpt_7_dim2_sp_ip_CI_unitstride_sbrr_dirReg
	.globl	fft_rtc_fwd_len42_factors_2_3_7_wgs_63_tpt_7_dim2_sp_ip_CI_unitstride_sbrr_dirReg
	.p2align	8
	.type	fft_rtc_fwd_len42_factors_2_3_7_wgs_63_tpt_7_dim2_sp_ip_CI_unitstride_sbrr_dirReg,@function
fft_rtc_fwd_len42_factors_2_3_7_wgs_63_tpt_7_dim2_sp_ip_CI_unitstride_sbrr_dirReg: ; @fft_rtc_fwd_len42_factors_2_3_7_wgs_63_tpt_7_dim2_sp_ip_CI_unitstride_sbrr_dirReg
; %bb.0:
	s_load_dwordx2 s[2:3], s[4:5], 0x48
	s_load_dwordx4 s[8:11], s[4:5], 0x0
	s_load_dwordx2 s[0:1], s[4:5], 0x10
	v_mul_u32_u24_e32 v1, 0x2493, v0
	v_lshrrev_b32_e32 v1, 16, v1
	v_mad_u64_u32 v[3:4], s[6:7], s6, 9, v[1:2]
	s_waitcnt lgkmcnt(0)
	s_load_dwordx2 s[10:11], s[10:11], 0x8
	v_mov_b32_e32 v1, 0
	s_load_dwordx2 s[6:7], s[0:1], 0x8
	v_mov_b32_e32 v4, 0
	v_mov_b32_e32 v2, 0
	s_waitcnt lgkmcnt(0)
	v_cmp_le_u64_e32 vcc, s[10:11], v[3:4]
	v_mov_b32_e32 v6, v2
	s_movk_i32 s14, 0x2493
	v_mov_b32_e32 v5, v1
	s_and_saveexec_b64 s[12:13], vcc
	s_cbranch_execz .LBB0_2
; %bb.1:
	v_cvt_f32_u32_e32 v5, s10
	s_sub_i32 s15, 0, s10
	v_rcp_iflag_f32_e32 v5, v5
	v_mul_f32_e32 v5, 0x4f7ffffe, v5
	v_cvt_u32_f32_e32 v5, v5
	v_mul_lo_u32 v6, s15, v5
	v_mul_hi_u32 v6, v5, v6
	v_add_u32_e32 v5, v5, v6
	v_mul_hi_u32 v5, v3, v5
	v_mul_lo_u32 v6, v5, s10
	v_add_u32_e32 v7, 1, v5
	v_sub_u32_e32 v6, v3, v6
	v_subrev_u32_e32 v8, s10, v6
	v_cmp_le_u32_e32 vcc, s10, v6
	v_cndmask_b32_e32 v6, v6, v8, vcc
	v_cndmask_b32_e32 v5, v5, v7, vcc
	v_add_u32_e32 v7, 1, v5
	v_cmp_le_u32_e32 vcc, s10, v6
	v_cndmask_b32_e32 v5, v5, v7, vcc
	v_mov_b32_e32 v6, v4
.LBB0_2:
	s_or_b64 exec, exec, s[12:13]
	v_mad_u64_u32 v[7:8], s[12:13], v5, s10, 0
	s_load_dwordx2 s[0:1], s[0:1], 0x10
	v_mov_b32_e32 v11, v2
	v_mov_b32_e32 v4, v8
	v_mad_u64_u32 v[8:9], s[10:11], v5, s11, v[4:5]
	v_sub_co_u32_e32 v7, vcc, v3, v7
	v_mov_b32_e32 v4, v8
	v_subb_co_u32_e32 v4, vcc, 0, v4, vcc
	v_mul_lo_u32 v9, s7, v7
	v_mul_lo_u32 v4, s6, v4
	v_mad_u64_u32 v[7:8], s[6:7], s6, v7, 0
	s_load_dwordx2 s[4:5], s[4:5], 0x18
	v_mov_b32_e32 v10, v1
	v_add3_u32 v8, v8, v4, v9
	s_waitcnt lgkmcnt(0)
	v_mad_u64_u32 v[7:8], s[6:7], s0, v5, v[7:8]
	v_cmp_gt_u64_e32 vcc, s[4:5], v[5:6]
                                        ; implicit-def: $vgpr15
	v_mov_b32_e32 v4, v8
	v_mad_u64_u32 v[8:9], s[0:1], s1, v5, v[4:5]
	v_mul_u32_u24_sdwa v4, v0, s14 dst_sel:DWORD dst_unused:UNUSED_PAD src0_sel:WORD_0 src1_sel:DWORD
	v_mov_b32_e32 v9, 7
	v_mul_lo_u16_sdwa v4, v4, v9 dst_sel:DWORD dst_unused:UNUSED_PAD src0_sel:WORD_1 src1_sel:DWORD
	v_sub_u16_e32 v17, v0, v4
	v_lshlrev_b64 v[12:13], 3, v[7:8]
	v_mov_b32_e32 v9, v2
	v_lshlrev_b32_e32 v16, 3, v17
	v_mov_b32_e32 v8, v1
                                        ; implicit-def: $vgpr5
                                        ; implicit-def: $vgpr7
	s_and_saveexec_b64 s[4:5], vcc
	s_cbranch_execz .LBB0_4
; %bb.3:
	v_mov_b32_e32 v0, s3
	v_add_co_u32_e64 v1, s[0:1], s2, v12
	v_addc_co_u32_e64 v0, s[0:1], v0, v13, s[0:1]
	v_add_co_u32_e64 v18, s[0:1], v1, v16
	v_addc_co_u32_e64 v19, s[0:1], 0, v0, s[0:1]
	global_load_dwordx2 v[1:2], v[18:19], off
	global_load_dwordx2 v[10:11], v[18:19], off offset:56
	global_load_dwordx2 v[4:5], v[18:19], off offset:168
	;; [unrolled: 1-line block ×5, first 2 shown]
.LBB0_4:
	s_or_b64 exec, exec, s[4:5]
	s_mov_b32 s0, 0x38e38e39
	v_mul_hi_u32 v0, v3, s0
	s_waitcnt vmcnt(1)
	v_sub_f32_e32 v14, v10, v14
	v_sub_f32_e32 v15, v11, v15
	v_add_u32_e32 v27, 7, v17
	v_lshrrev_b32_e32 v0, 1, v0
	v_lshl_add_u32 v0, v0, 3, v0
	v_sub_u32_e32 v0, v3, v0
	v_mul_u32_u24_e32 v0, 42, v0
	v_lshl_add_u32 v26, v0, 3, 0
	v_fma_f32 v10, v10, 2.0, -v14
	v_fma_f32 v11, v11, 2.0, -v15
	v_lshl_add_u32 v0, v27, 4, v26
	v_sub_f32_e32 v3, v1, v4
	v_sub_f32_e32 v4, v2, v5
	ds_write2_b64 v0, v[10:11], v[14:15] offset1:1
	v_fma_f32 v0, v1, 2.0, -v3
	v_fma_f32 v1, v2, 2.0, -v4
	s_waitcnt vmcnt(0)
	v_sub_f32_e32 v5, v8, v6
	v_sub_f32_e32 v6, v9, v7
	v_lshl_add_u32 v2, v17, 4, v26
	v_and_b32_e32 v14, 1, v27
	v_fma_f32 v7, v8, 2.0, -v5
	v_fma_f32 v8, v9, 2.0, -v6
	ds_write2_b64 v2, v[0:1], v[3:4] offset1:1
	ds_write2_b64 v2, v[7:8], v[5:6] offset0:28 offset1:29
	v_lshlrev_b32_e32 v0, 4, v14
	s_waitcnt lgkmcnt(0)
	; wave barrier
	s_waitcnt lgkmcnt(0)
	global_load_dwordx4 v[8:11], v0, s[8:9]
	v_and_b32_e32 v15, 1, v17
	v_lshlrev_b32_e32 v0, 4, v15
	global_load_dwordx4 v[18:21], v0, s[8:9]
	v_sub_u32_e32 v6, v2, v16
	ds_read_b64 v[0:1], v6 offset:280
	ds_read2_b64 v[22:25], v6 offset0:21 offset1:28
	v_add_u32_e32 v7, v26, v16
	ds_read_b64 v[2:3], v7
	v_cmp_gt_u16_e64 s[0:1], 6, v17
	s_waitcnt vmcnt(1) lgkmcnt(2)
	v_mul_f32_e32 v28, v11, v0
	v_mul_f32_e32 v4, v11, v1
	v_fmac_f32_e32 v28, v10, v1
	s_waitcnt lgkmcnt(1)
	v_mul_f32_e32 v1, v9, v23
	v_fma_f32 v1, v8, v22, -v1
	v_mul_f32_e32 v22, v9, v22
	v_fma_f32 v0, v10, v0, -v4
	v_fmac_f32_e32 v22, v8, v23
	ds_read2_b64 v[8:11], v6 offset0:7 offset1:14
	s_waitcnt vmcnt(0)
	v_mul_f32_e32 v4, v21, v25
	v_fma_f32 v23, v20, v24, -v4
	v_mul_f32_e32 v21, v21, v24
	v_fmac_f32_e32 v21, v20, v25
	s_waitcnt lgkmcnt(0)
	v_mul_f32_e32 v4, v19, v11
	v_fma_f32 v20, v18, v10, -v4
	v_mul_f32_e32 v10, v19, v10
	v_fmac_f32_e32 v10, v18, v11
	v_lshrrev_b32_e32 v11, 1, v17
	v_mul_u32_u24_e32 v11, 6, v11
	v_or_b32_e32 v11, v11, v15
	v_lshrrev_b32_e32 v15, 1, v27
	v_mul_u32_u24_e32 v15, 6, v15
	v_or_b32_e32 v18, v15, v14
	v_add_f32_e32 v14, v3, v10
	v_add_f32_e32 v4, v1, v0
	v_sub_f32_e32 v19, v10, v21
	v_add_f32_e32 v10, v10, v21
	v_add_f32_e32 v15, v14, v21
	;; [unrolled: 1-line block ×4, first 2 shown]
	v_fma_f32 v4, -0.5, v4, v8
	v_add_f32_e32 v8, v8, v1
	v_add_f32_e32 v14, v2, v20
	v_fma_f32 v2, -0.5, v21, v2
	v_fma_f32 v5, -0.5, v5, v9
	v_add_f32_e32 v14, v14, v23
	v_sub_f32_e32 v20, v20, v23
	v_add_f32_e32 v8, v8, v0
	v_sub_f32_e32 v23, v1, v0
	v_fmac_f32_e32 v3, -0.5, v10
	v_mov_b32_e32 v0, v2
	v_add_f32_e32 v9, v9, v22
	v_sub_f32_e32 v22, v22, v28
	v_fmac_f32_e32 v2, 0xbf5db3d7, v19
	v_fmac_f32_e32 v0, 0x3f5db3d7, v19
	v_lshl_add_u32 v19, v11, 3, v26
	v_mov_b32_e32 v1, v3
	v_mov_b32_e32 v10, v4
	;; [unrolled: 1-line block ×3, first 2 shown]
	v_add_f32_e32 v9, v9, v28
	v_fmac_f32_e32 v3, 0x3f5db3d7, v20
	v_fmac_f32_e32 v4, 0xbf5db3d7, v22
	;; [unrolled: 1-line block ×6, first 2 shown]
	v_lshl_add_u32 v18, v18, 3, v26
	s_waitcnt lgkmcnt(0)
	; wave barrier
	ds_write_b64 v19, v[2:3] offset:32
	ds_write2_b64 v19, v[14:15], v[0:1] offset1:2
	ds_write2_b64 v18, v[8:9], v[10:11] offset1:2
	ds_write_b64 v18, v[4:5] offset:32
	s_waitcnt lgkmcnt(0)
	; wave barrier
	s_waitcnt lgkmcnt(0)
	s_and_saveexec_b64 s[4:5], s[0:1]
	s_cbranch_execnz .LBB0_7
; %bb.5:
	s_or_b64 exec, exec, s[4:5]
	s_and_b64 s[0:1], vcc, s[0:1]
	s_and_saveexec_b64 s[4:5], s[0:1]
	s_cbranch_execnz .LBB0_8
.LBB0_6:
	s_endpgm
.LBB0_7:
	ds_read_b64 v[14:15], v7
	ds_read2_b64 v[0:3], v6 offset0:6 offset1:12
	ds_read2_b64 v[8:11], v6 offset0:18 offset1:24
	;; [unrolled: 1-line block ×3, first 2 shown]
	s_or_b64 exec, exec, s[4:5]
	s_and_b64 s[0:1], vcc, s[0:1]
	s_and_saveexec_b64 s[4:5], s[0:1]
	s_cbranch_execz .LBB0_6
.LBB0_8:
	v_mul_u32_u24_e32 v17, 6, v17
	v_lshlrev_b32_e32 v25, 3, v17
	global_load_dwordx4 v[17:20], v25, s[8:9] offset:48
	global_load_dwordx4 v[21:24], v25, s[8:9] offset:32
	s_mov_b32 s0, 0xbeae86e6
	s_mov_b32 s1, 0xbf3bfb3b
	;; [unrolled: 1-line block ×3, first 2 shown]
	v_add_co_u32_e32 v12, vcc, s2, v12
	s_waitcnt vmcnt(1) lgkmcnt(1)
	v_mul_f32_e32 v27, v9, v18
	v_mul_f32_e32 v18, v8, v18
	;; [unrolled: 1-line block ×3, first 2 shown]
	v_fma_f32 v27, v8, v17, -v27
	v_fmac_f32_e32 v18, v9, v17
	v_mul_f32_e32 v17, v10, v20
	v_fma_f32 v26, v10, v19, -v26
	v_fmac_f32_e32 v17, v11, v19
	global_load_dwordx4 v[8:11], v25, s[8:9] offset:64
	s_waitcnt vmcnt(0) lgkmcnt(0)
	v_mul_f32_e32 v19, v7, v11
	v_mul_f32_e32 v20, v5, v9
	v_fma_f32 v19, v6, v10, -v19
	v_fma_f32 v20, v4, v8, -v20
	v_mul_f32_e32 v6, v6, v11
	v_mul_f32_e32 v4, v4, v9
	v_fmac_f32_e32 v6, v7, v10
	v_fmac_f32_e32 v4, v5, v8
	v_mul_f32_e32 v5, v1, v22
	v_mul_f32_e32 v7, v3, v24
	;; [unrolled: 1-line block ×3, first 2 shown]
	v_fma_f32 v0, v0, v21, -v5
	v_fma_f32 v5, v2, v23, -v7
	v_fmac_f32_e32 v8, v1, v21
	v_mul_f32_e32 v1, v2, v24
	v_fmac_f32_e32 v1, v3, v23
	v_sub_f32_e32 v2, v0, v19
	v_sub_f32_e32 v3, v26, v27
	;; [unrolled: 1-line block ×3, first 2 shown]
	v_add_f32_e32 v9, v8, v6
	v_add_f32_e32 v10, v17, v18
	;; [unrolled: 1-line block ×5, first 2 shown]
	v_sub_f32_e32 v6, v8, v6
	v_sub_f32_e32 v8, v17, v18
	;; [unrolled: 1-line block ×5, first 2 shown]
	v_add_f32_e32 v3, v3, v7
	v_add_f32_e32 v19, v26, v27
	v_sub_f32_e32 v18, v9, v10
	v_sub_f32_e32 v20, v10, v11
	v_add_f32_e32 v21, v9, v11
	v_sub_f32_e32 v9, v11, v9
	v_add_f32_e32 v11, v0, v5
	;; [unrolled: 2-line block ×3, first 2 shown]
	v_add_f32_e32 v2, v8, v1
	v_sub_f32_e32 v22, v0, v19
	v_sub_f32_e32 v23, v19, v5
	;; [unrolled: 1-line block ×6, first 2 shown]
	v_mul_f32_e32 v17, 0xbf08b237, v17
	v_add_f32_e32 v3, v10, v21
	v_add_f32_e32 v11, v19, v11
	;; [unrolled: 1-line block ×3, first 2 shown]
	v_mul_f32_e32 v2, 0x3f5ff5aa, v7
	v_mul_f32_e32 v10, 0x3f4a47b2, v18
	;; [unrolled: 1-line block ×3, first 2 shown]
	v_add_f32_e32 v1, v15, v3
	v_add_f32_e32 v0, v14, v11
	v_mov_b32_e32 v14, v17
	v_fma_f32 v15, v4, s0, -v2
	v_mul_f32_e32 v2, 0x3f5ff5aa, v8
	v_mul_f32_e32 v20, 0x3d64c772, v20
	v_fmac_f32_e32 v14, 0x3eae86e6, v4
	v_fma_f32 v4, v9, s1, -v10
	v_fma_f32 v10, v5, s0, -v2
	v_mov_b32_e32 v2, v1
	s_mov_b32 s0, 0x3f5ff5aa
	v_fma_f32 v9, v9, s4, -v20
	v_fmac_f32_e32 v2, 0xbf955555, v3
	v_fma_f32 v17, v7, s0, -v17
	v_add_f32_e32 v9, v9, v2
	v_fmac_f32_e32 v17, 0x3ee1c552, v25
	v_mul_f32_e32 v21, 0x3d64c772, v23
	v_fmac_f32_e32 v20, 0x3f4a47b2, v18
	v_mov_b32_e32 v18, v19
	v_mov_b32_e32 v23, v0
	v_sub_f32_e32 v7, v9, v17
	v_add_f32_e32 v9, v17, v9
	v_mov_b32_e32 v17, s3
	v_fmac_f32_e32 v18, 0x3eae86e6, v5
	v_fmac_f32_e32 v23, 0xbf955555, v11
	v_add_f32_e32 v20, v20, v2
	v_add_f32_e32 v11, v4, v2
	v_mov_b32_e32 v2, v21
	v_mul_f32_e32 v4, 0x3f4a47b2, v22
	v_fma_f32 v8, v8, s0, -v19
	v_addc_co_u32_e32 v13, vcc, v17, v13, vcc
	v_fmac_f32_e32 v2, 0x3f4a47b2, v22
	v_fmac_f32_e32 v18, 0x3ee1c552, v6
	v_fma_f32 v4, v24, s1, -v4
	v_fmac_f32_e32 v10, 0x3ee1c552, v6
	v_fmac_f32_e32 v8, 0x3ee1c552, v6
	v_fma_f32 v6, v24, s4, -v21
	v_add_co_u32_e32 v12, vcc, v12, v16
	v_fmac_f32_e32 v14, 0x3ee1c552, v25
	v_add_f32_e32 v22, v2, v23
	v_fmac_f32_e32 v15, 0x3ee1c552, v25
	v_add_f32_e32 v19, v4, v23
	v_add_f32_e32 v21, v6, v23
	v_addc_co_u32_e32 v13, vcc, 0, v13, vcc
	v_add_f32_e32 v3, v14, v20
	v_sub_f32_e32 v2, v22, v18
	v_add_f32_e32 v5, v15, v11
	v_sub_f32_e32 v4, v19, v10
	;; [unrolled: 2-line block ×3, first 2 shown]
	v_sub_f32_e32 v11, v11, v15
	v_add_f32_e32 v10, v10, v19
	v_sub_f32_e32 v15, v20, v14
	v_add_f32_e32 v14, v18, v22
	global_store_dwordx2 v[12:13], v[0:1], off
	global_store_dwordx2 v[12:13], v[14:15], off offset:48
	global_store_dwordx2 v[12:13], v[10:11], off offset:96
	;; [unrolled: 1-line block ×6, first 2 shown]
	s_endpgm
	.section	.rodata,"a",@progbits
	.p2align	6, 0x0
	.amdhsa_kernel fft_rtc_fwd_len42_factors_2_3_7_wgs_63_tpt_7_dim2_sp_ip_CI_unitstride_sbrr_dirReg
		.amdhsa_group_segment_fixed_size 0
		.amdhsa_private_segment_fixed_size 0
		.amdhsa_kernarg_size 80
		.amdhsa_user_sgpr_count 6
		.amdhsa_user_sgpr_private_segment_buffer 1
		.amdhsa_user_sgpr_dispatch_ptr 0
		.amdhsa_user_sgpr_queue_ptr 0
		.amdhsa_user_sgpr_kernarg_segment_ptr 1
		.amdhsa_user_sgpr_dispatch_id 0
		.amdhsa_user_sgpr_flat_scratch_init 0
		.amdhsa_user_sgpr_private_segment_size 0
		.amdhsa_uses_dynamic_stack 0
		.amdhsa_system_sgpr_private_segment_wavefront_offset 0
		.amdhsa_system_sgpr_workgroup_id_x 1
		.amdhsa_system_sgpr_workgroup_id_y 0
		.amdhsa_system_sgpr_workgroup_id_z 0
		.amdhsa_system_sgpr_workgroup_info 0
		.amdhsa_system_vgpr_workitem_id 0
		.amdhsa_next_free_vgpr 29
		.amdhsa_next_free_sgpr 16
		.amdhsa_reserve_vcc 1
		.amdhsa_reserve_flat_scratch 0
		.amdhsa_float_round_mode_32 0
		.amdhsa_float_round_mode_16_64 0
		.amdhsa_float_denorm_mode_32 3
		.amdhsa_float_denorm_mode_16_64 3
		.amdhsa_dx10_clamp 1
		.amdhsa_ieee_mode 1
		.amdhsa_fp16_overflow 0
		.amdhsa_exception_fp_ieee_invalid_op 0
		.amdhsa_exception_fp_denorm_src 0
		.amdhsa_exception_fp_ieee_div_zero 0
		.amdhsa_exception_fp_ieee_overflow 0
		.amdhsa_exception_fp_ieee_underflow 0
		.amdhsa_exception_fp_ieee_inexact 0
		.amdhsa_exception_int_div_zero 0
	.end_amdhsa_kernel
	.text
.Lfunc_end0:
	.size	fft_rtc_fwd_len42_factors_2_3_7_wgs_63_tpt_7_dim2_sp_ip_CI_unitstride_sbrr_dirReg, .Lfunc_end0-fft_rtc_fwd_len42_factors_2_3_7_wgs_63_tpt_7_dim2_sp_ip_CI_unitstride_sbrr_dirReg
                                        ; -- End function
	.section	.AMDGPU.csdata,"",@progbits
; Kernel info:
; codeLenInByte = 1872
; NumSgprs: 20
; NumVgprs: 29
; ScratchSize: 0
; MemoryBound: 0
; FloatMode: 240
; IeeeMode: 1
; LDSByteSize: 0 bytes/workgroup (compile time only)
; SGPRBlocks: 2
; VGPRBlocks: 7
; NumSGPRsForWavesPerEU: 20
; NumVGPRsForWavesPerEU: 29
; Occupancy: 8
; WaveLimiterHint : 1
; COMPUTE_PGM_RSRC2:SCRATCH_EN: 0
; COMPUTE_PGM_RSRC2:USER_SGPR: 6
; COMPUTE_PGM_RSRC2:TRAP_HANDLER: 0
; COMPUTE_PGM_RSRC2:TGID_X_EN: 1
; COMPUTE_PGM_RSRC2:TGID_Y_EN: 0
; COMPUTE_PGM_RSRC2:TGID_Z_EN: 0
; COMPUTE_PGM_RSRC2:TIDIG_COMP_CNT: 0
	.type	__hip_cuid_ac199d6fa7edf6d8,@object ; @__hip_cuid_ac199d6fa7edf6d8
	.section	.bss,"aw",@nobits
	.globl	__hip_cuid_ac199d6fa7edf6d8
__hip_cuid_ac199d6fa7edf6d8:
	.byte	0                               ; 0x0
	.size	__hip_cuid_ac199d6fa7edf6d8, 1

	.ident	"AMD clang version 19.0.0git (https://github.com/RadeonOpenCompute/llvm-project roc-6.4.0 25133 c7fe45cf4b819c5991fe208aaa96edf142730f1d)"
	.section	".note.GNU-stack","",@progbits
	.addrsig
	.addrsig_sym __hip_cuid_ac199d6fa7edf6d8
	.amdgpu_metadata
---
amdhsa.kernels:
  - .args:
      - .actual_access:  read_only
        .address_space:  global
        .offset:         0
        .size:           8
        .value_kind:     global_buffer
      - .actual_access:  read_only
        .address_space:  global
        .offset:         8
        .size:           8
        .value_kind:     global_buffer
      - .actual_access:  read_only
        .address_space:  global
        .offset:         16
        .size:           8
        .value_kind:     global_buffer
      - .offset:         24
        .size:           8
        .value_kind:     by_value
      - .actual_access:  read_only
        .address_space:  global
        .offset:         32
        .size:           8
        .value_kind:     global_buffer
      - .actual_access:  read_only
        .address_space:  global
        .offset:         40
        .size:           8
        .value_kind:     global_buffer
      - .offset:         48
        .size:           4
        .value_kind:     by_value
      - .actual_access:  read_only
        .address_space:  global
        .offset:         56
        .size:           8
        .value_kind:     global_buffer
      - .actual_access:  read_only
        .address_space:  global
        .offset:         64
        .size:           8
        .value_kind:     global_buffer
      - .address_space:  global
        .offset:         72
        .size:           8
        .value_kind:     global_buffer
    .group_segment_fixed_size: 0
    .kernarg_segment_align: 8
    .kernarg_segment_size: 80
    .language:       OpenCL C
    .language_version:
      - 2
      - 0
    .max_flat_workgroup_size: 63
    .name:           fft_rtc_fwd_len42_factors_2_3_7_wgs_63_tpt_7_dim2_sp_ip_CI_unitstride_sbrr_dirReg
    .private_segment_fixed_size: 0
    .sgpr_count:     20
    .sgpr_spill_count: 0
    .symbol:         fft_rtc_fwd_len42_factors_2_3_7_wgs_63_tpt_7_dim2_sp_ip_CI_unitstride_sbrr_dirReg.kd
    .uniform_work_group_size: 1
    .uses_dynamic_stack: false
    .vgpr_count:     29
    .vgpr_spill_count: 0
    .wavefront_size: 64
amdhsa.target:   amdgcn-amd-amdhsa--gfx906
amdhsa.version:
  - 1
  - 2
...

	.end_amdgpu_metadata
